;; amdgpu-corpus repo=ROCm/rocFFT kind=compiled arch=gfx1030 opt=O3
	.text
	.amdgcn_target "amdgcn-amd-amdhsa--gfx1030"
	.amdhsa_code_object_version 6
	.protected	fft_rtc_back_len187_factors_17_11_wgs_119_tpt_17_halfLds_sp_ip_CI_sbrr_dirReg ; -- Begin function fft_rtc_back_len187_factors_17_11_wgs_119_tpt_17_halfLds_sp_ip_CI_sbrr_dirReg
	.globl	fft_rtc_back_len187_factors_17_11_wgs_119_tpt_17_halfLds_sp_ip_CI_sbrr_dirReg
	.p2align	8
	.type	fft_rtc_back_len187_factors_17_11_wgs_119_tpt_17_halfLds_sp_ip_CI_sbrr_dirReg,@function
fft_rtc_back_len187_factors_17_11_wgs_119_tpt_17_halfLds_sp_ip_CI_sbrr_dirReg: ; @fft_rtc_back_len187_factors_17_11_wgs_119_tpt_17_halfLds_sp_ip_CI_sbrr_dirReg
; %bb.0:
	s_clause 0x1
	s_load_dwordx2 s[14:15], s[4:5], 0x18
	s_load_dwordx4 s[8:11], s[4:5], 0x0
	v_mul_u32_u24_e32 v1, 0xf10, v0
	v_mov_b32_e32 v3, 0
	s_load_dwordx2 s[12:13], s[4:5], 0x50
	s_waitcnt lgkmcnt(0)
	s_load_dwordx2 s[2:3], s[14:15], 0x0
	v_lshrrev_b32_e32 v1, 16, v1
	v_cmp_lt_u64_e64 s0, s[10:11], 2
	v_mad_u64_u32 v[22:23], null, s6, 7, v[1:2]
	v_mov_b32_e32 v23, v3
	v_mov_b32_e32 v1, 0
	;; [unrolled: 1-line block ×3, first 2 shown]
	s_and_b32 vcc_lo, exec_lo, s0
	v_mov_b32_e32 v7, v22
	v_mov_b32_e32 v8, v23
	s_cbranch_vccnz .LBB0_8
; %bb.1:
	s_load_dwordx2 s[0:1], s[4:5], 0x10
	v_mov_b32_e32 v1, 0
	v_mov_b32_e32 v5, v22
	s_add_u32 s6, s14, 8
	v_mov_b32_e32 v2, 0
	v_mov_b32_e32 v6, v23
	s_addc_u32 s7, s15, 0
	s_mov_b64 s[18:19], 1
	s_waitcnt lgkmcnt(0)
	s_add_u32 s16, s0, 8
	s_addc_u32 s17, s1, 0
.LBB0_2:                                ; =>This Inner Loop Header: Depth=1
	s_load_dwordx2 s[20:21], s[16:17], 0x0
                                        ; implicit-def: $vgpr7_vgpr8
	s_mov_b32 s0, exec_lo
	s_waitcnt lgkmcnt(0)
	v_or_b32_e32 v4, s21, v6
	v_cmpx_ne_u64_e32 0, v[3:4]
	s_xor_b32 s1, exec_lo, s0
	s_cbranch_execz .LBB0_4
; %bb.3:                                ;   in Loop: Header=BB0_2 Depth=1
	v_cvt_f32_u32_e32 v4, s20
	v_cvt_f32_u32_e32 v7, s21
	s_sub_u32 s0, 0, s20
	s_subb_u32 s22, 0, s21
	v_fmac_f32_e32 v4, 0x4f800000, v7
	v_rcp_f32_e32 v4, v4
	v_mul_f32_e32 v4, 0x5f7ffffc, v4
	v_mul_f32_e32 v7, 0x2f800000, v4
	v_trunc_f32_e32 v7, v7
	v_fmac_f32_e32 v4, 0xcf800000, v7
	v_cvt_u32_f32_e32 v7, v7
	v_cvt_u32_f32_e32 v4, v4
	v_mul_lo_u32 v8, s0, v7
	v_mul_hi_u32 v9, s0, v4
	v_mul_lo_u32 v10, s22, v4
	v_add_nc_u32_e32 v8, v9, v8
	v_mul_lo_u32 v9, s0, v4
	v_add_nc_u32_e32 v8, v8, v10
	v_mul_hi_u32 v10, v4, v9
	v_mul_lo_u32 v11, v4, v8
	v_mul_hi_u32 v12, v4, v8
	v_mul_hi_u32 v13, v7, v9
	v_mul_lo_u32 v9, v7, v9
	v_mul_hi_u32 v14, v7, v8
	v_mul_lo_u32 v8, v7, v8
	v_add_co_u32 v10, vcc_lo, v10, v11
	v_add_co_ci_u32_e32 v11, vcc_lo, 0, v12, vcc_lo
	v_add_co_u32 v9, vcc_lo, v10, v9
	v_add_co_ci_u32_e32 v9, vcc_lo, v11, v13, vcc_lo
	v_add_co_ci_u32_e32 v10, vcc_lo, 0, v14, vcc_lo
	v_add_co_u32 v8, vcc_lo, v9, v8
	v_add_co_ci_u32_e32 v9, vcc_lo, 0, v10, vcc_lo
	v_add_co_u32 v4, vcc_lo, v4, v8
	v_add_co_ci_u32_e32 v7, vcc_lo, v7, v9, vcc_lo
	v_mul_hi_u32 v8, s0, v4
	v_mul_lo_u32 v10, s22, v4
	v_mul_lo_u32 v9, s0, v7
	v_add_nc_u32_e32 v8, v8, v9
	v_mul_lo_u32 v9, s0, v4
	v_add_nc_u32_e32 v8, v8, v10
	v_mul_hi_u32 v10, v4, v9
	v_mul_lo_u32 v11, v4, v8
	v_mul_hi_u32 v12, v4, v8
	v_mul_hi_u32 v13, v7, v9
	v_mul_lo_u32 v9, v7, v9
	v_mul_hi_u32 v14, v7, v8
	v_mul_lo_u32 v8, v7, v8
	v_add_co_u32 v10, vcc_lo, v10, v11
	v_add_co_ci_u32_e32 v11, vcc_lo, 0, v12, vcc_lo
	v_add_co_u32 v9, vcc_lo, v10, v9
	v_add_co_ci_u32_e32 v9, vcc_lo, v11, v13, vcc_lo
	v_add_co_ci_u32_e32 v10, vcc_lo, 0, v14, vcc_lo
	v_add_co_u32 v8, vcc_lo, v9, v8
	v_add_co_ci_u32_e32 v9, vcc_lo, 0, v10, vcc_lo
	v_add_co_u32 v4, vcc_lo, v4, v8
	v_add_co_ci_u32_e32 v11, vcc_lo, v7, v9, vcc_lo
	v_mul_hi_u32 v13, v5, v4
	v_mad_u64_u32 v[9:10], null, v6, v4, 0
	v_mad_u64_u32 v[7:8], null, v5, v11, 0
	v_mad_u64_u32 v[11:12], null, v6, v11, 0
	v_add_co_u32 v4, vcc_lo, v13, v7
	v_add_co_ci_u32_e32 v7, vcc_lo, 0, v8, vcc_lo
	v_add_co_u32 v4, vcc_lo, v4, v9
	v_add_co_ci_u32_e32 v4, vcc_lo, v7, v10, vcc_lo
	v_add_co_ci_u32_e32 v7, vcc_lo, 0, v12, vcc_lo
	v_add_co_u32 v4, vcc_lo, v4, v11
	v_add_co_ci_u32_e32 v9, vcc_lo, 0, v7, vcc_lo
	v_mul_lo_u32 v10, s21, v4
	v_mad_u64_u32 v[7:8], null, s20, v4, 0
	v_mul_lo_u32 v11, s20, v9
	v_sub_co_u32 v7, vcc_lo, v5, v7
	v_add3_u32 v8, v8, v11, v10
	v_sub_nc_u32_e32 v10, v6, v8
	v_subrev_co_ci_u32_e64 v10, s0, s21, v10, vcc_lo
	v_add_co_u32 v11, s0, v4, 2
	v_add_co_ci_u32_e64 v12, s0, 0, v9, s0
	v_sub_co_u32 v13, s0, v7, s20
	v_sub_co_ci_u32_e32 v8, vcc_lo, v6, v8, vcc_lo
	v_subrev_co_ci_u32_e64 v10, s0, 0, v10, s0
	v_cmp_le_u32_e32 vcc_lo, s20, v13
	v_cmp_eq_u32_e64 s0, s21, v8
	v_cndmask_b32_e64 v13, 0, -1, vcc_lo
	v_cmp_le_u32_e32 vcc_lo, s21, v10
	v_cndmask_b32_e64 v14, 0, -1, vcc_lo
	v_cmp_le_u32_e32 vcc_lo, s20, v7
	;; [unrolled: 2-line block ×3, first 2 shown]
	v_cndmask_b32_e64 v15, 0, -1, vcc_lo
	v_cmp_eq_u32_e32 vcc_lo, s21, v10
	v_cndmask_b32_e64 v7, v15, v7, s0
	v_cndmask_b32_e32 v10, v14, v13, vcc_lo
	v_add_co_u32 v13, vcc_lo, v4, 1
	v_add_co_ci_u32_e32 v14, vcc_lo, 0, v9, vcc_lo
	v_cmp_ne_u32_e32 vcc_lo, 0, v10
	v_cndmask_b32_e32 v8, v14, v12, vcc_lo
	v_cndmask_b32_e32 v10, v13, v11, vcc_lo
	v_cmp_ne_u32_e32 vcc_lo, 0, v7
	v_cndmask_b32_e32 v8, v9, v8, vcc_lo
	v_cndmask_b32_e32 v7, v4, v10, vcc_lo
.LBB0_4:                                ;   in Loop: Header=BB0_2 Depth=1
	s_andn2_saveexec_b32 s0, s1
	s_cbranch_execz .LBB0_6
; %bb.5:                                ;   in Loop: Header=BB0_2 Depth=1
	v_cvt_f32_u32_e32 v4, s20
	s_sub_i32 s1, 0, s20
	v_rcp_iflag_f32_e32 v4, v4
	v_mul_f32_e32 v4, 0x4f7ffffe, v4
	v_cvt_u32_f32_e32 v4, v4
	v_mul_lo_u32 v7, s1, v4
	v_mul_hi_u32 v7, v4, v7
	v_add_nc_u32_e32 v4, v4, v7
	v_mul_hi_u32 v4, v5, v4
	v_mul_lo_u32 v7, v4, s20
	v_add_nc_u32_e32 v8, 1, v4
	v_sub_nc_u32_e32 v7, v5, v7
	v_subrev_nc_u32_e32 v9, s20, v7
	v_cmp_le_u32_e32 vcc_lo, s20, v7
	v_cndmask_b32_e32 v7, v7, v9, vcc_lo
	v_cndmask_b32_e32 v4, v4, v8, vcc_lo
	v_cmp_le_u32_e32 vcc_lo, s20, v7
	v_add_nc_u32_e32 v8, 1, v4
	v_cndmask_b32_e32 v7, v4, v8, vcc_lo
	v_mov_b32_e32 v8, v3
.LBB0_6:                                ;   in Loop: Header=BB0_2 Depth=1
	s_or_b32 exec_lo, exec_lo, s0
	s_load_dwordx2 s[0:1], s[6:7], 0x0
	v_mul_lo_u32 v4, v8, s20
	v_mul_lo_u32 v11, v7, s21
	v_mad_u64_u32 v[9:10], null, v7, s20, 0
	s_add_u32 s18, s18, 1
	s_addc_u32 s19, s19, 0
	s_add_u32 s6, s6, 8
	s_addc_u32 s7, s7, 0
	s_add_u32 s16, s16, 8
	s_addc_u32 s17, s17, 0
	v_add3_u32 v4, v10, v11, v4
	v_sub_co_u32 v5, vcc_lo, v5, v9
	v_sub_co_ci_u32_e32 v4, vcc_lo, v6, v4, vcc_lo
	s_waitcnt lgkmcnt(0)
	v_mul_lo_u32 v6, s1, v5
	v_mul_lo_u32 v4, s0, v4
	v_mad_u64_u32 v[1:2], null, s0, v5, v[1:2]
	v_cmp_ge_u64_e64 s0, s[18:19], s[10:11]
	s_and_b32 vcc_lo, exec_lo, s0
	v_add3_u32 v2, v6, v2, v4
	s_cbranch_vccnz .LBB0_8
; %bb.7:                                ;   in Loop: Header=BB0_2 Depth=1
	v_mov_b32_e32 v5, v7
	v_mov_b32_e32 v6, v8
	s_branch .LBB0_2
.LBB0_8:
	s_lshl_b64 s[0:1], s[10:11], 3
	v_mul_hi_u32 v3, 0xf0f0f10, v0
	s_add_u32 s0, s14, s0
	s_addc_u32 s1, s15, s1
	v_mov_b32_e32 v15, 0
	s_load_dwordx2 s[0:1], s[0:1], 0x0
	s_load_dwordx2 s[4:5], s[4:5], 0x20
	v_mov_b32_e32 v46, 0
	v_mov_b32_e32 v14, 0
                                        ; implicit-def: $vgpr39
                                        ; implicit-def: $vgpr35
                                        ; implicit-def: $vgpr19
                                        ; implicit-def: $vgpr17
                                        ; implicit-def: $vgpr11
                                        ; implicit-def: $vgpr43
                                        ; implicit-def: $vgpr45
                                        ; implicit-def: $vgpr41
                                        ; implicit-def: $vgpr37
                                        ; implicit-def: $vgpr33
                                        ; implicit-def: $vgpr13
                                        ; implicit-def: $vgpr9
	s_waitcnt lgkmcnt(0)
	v_mul_lo_u32 v4, s0, v8
	v_mul_lo_u32 v5, s1, v7
	v_mad_u64_u32 v[20:21], null, s0, v7, v[1:2]
	v_mul_u32_u24_e32 v1, 17, v3
	v_cmp_gt_u64_e32 vcc_lo, s[4:5], v[7:8]
                                        ; implicit-def: $vgpr7
                                        ; implicit-def: $vgpr3
	v_sub_nc_u32_e32 v47, v0, v1
	v_add3_u32 v21, v5, v21, v4
                                        ; implicit-def: $vgpr1
                                        ; implicit-def: $vgpr5
	s_and_saveexec_b32 s1, vcc_lo
	s_cbranch_execz .LBB0_12
; %bb.9:
	v_mov_b32_e32 v14, 0
	v_mov_b32_e32 v15, 0
	s_mov_b32 s4, exec_lo
                                        ; implicit-def: $vgpr4
                                        ; implicit-def: $vgpr8
                                        ; implicit-def: $vgpr12
                                        ; implicit-def: $vgpr32
                                        ; implicit-def: $vgpr36
                                        ; implicit-def: $vgpr40
                                        ; implicit-def: $vgpr44
                                        ; implicit-def: $vgpr42
                                        ; implicit-def: $vgpr2
                                        ; implicit-def: $vgpr0
                                        ; implicit-def: $vgpr6
                                        ; implicit-def: $vgpr10
                                        ; implicit-def: $vgpr16
                                        ; implicit-def: $vgpr18
                                        ; implicit-def: $vgpr34
                                        ; implicit-def: $vgpr38
	v_cmpx_gt_u32_e32 11, v47
	s_cbranch_execz .LBB0_11
; %bb.10:
	v_add_nc_u32_e32 v9, 11, v47
	v_add_nc_u32_e32 v11, 22, v47
	v_mad_u64_u32 v[0:1], null, s2, v47, 0
	v_add_nc_u32_e32 v12, 33, v47
	v_mad_u64_u32 v[2:3], null, s2, v9, 0
	v_mad_u64_u32 v[4:5], null, s2, v11, 0
	v_add_nc_u32_e32 v14, 44, v47
	v_add_nc_u32_e32 v15, 55, v47
	;; [unrolled: 1-line block ×4, first 2 shown]
	v_mad_u64_u32 v[6:7], null, s3, v47, v[1:2]
	v_mov_b32_e32 v1, v3
	v_mov_b32_e32 v3, v5
	v_lshlrev_b64 v[7:8], 3, v[20:21]
	v_mad_u64_u32 v[25:26], null, s2, v29, 0
	v_mad_u64_u32 v[9:10], null, s3, v9, v[1:2]
	v_mov_b32_e32 v1, v6
	v_mad_u64_u32 v[5:6], null, s3, v11, v[3:4]
	v_mad_u64_u32 v[10:11], null, s2, v12, 0
	v_add_co_u32 v33, s0, s12, v7
	v_add_co_ci_u32_e64 v45, s0, s13, v8, s0
	v_mov_b32_e32 v3, v9
	v_lshlrev_b64 v[0:1], 3, v[0:1]
	v_mov_b32_e32 v6, v11
	v_lshlrev_b64 v[4:5], 3, v[4:5]
	v_add_nc_u32_e32 v42, 0x9a, v47
	v_lshlrev_b64 v[2:3], 3, v[2:3]
	v_add_nc_u32_e32 v46, 0xa5, v47
	v_mad_u64_u32 v[6:7], null, s3, v12, v[6:7]
	v_mad_u64_u32 v[7:8], null, s2, v14, 0
	;; [unrolled: 1-line block ×3, first 2 shown]
	v_add_co_u32 v0, s0, v33, v0
	v_mov_b32_e32 v11, v6
	v_add_co_ci_u32_e64 v1, s0, v45, v1, s0
	v_mov_b32_e32 v6, v8
	v_mov_b32_e32 v8, v13
	v_lshlrev_b64 v[9:10], 3, v[10:11]
	v_add_co_u32 v2, s0, v33, v2
	v_mad_u64_u32 v[13:14], null, s3, v14, v[6:7]
	v_add_nc_u32_e32 v6, 0x42, v47
	v_mad_u64_u32 v[14:15], null, s3, v15, v[8:9]
	v_add_co_ci_u32_e64 v3, s0, v45, v3, s0
	v_add_co_u32 v4, s0, v33, v4
	v_mad_u64_u32 v[16:17], null, s2, v6, 0
	v_add_co_ci_u32_e64 v5, s0, v45, v5, s0
	v_mov_b32_e32 v8, v13
	v_mov_b32_e32 v13, v14
	v_add_co_u32 v9, s0, v33, v9
	v_add_nc_u32_e32 v11, 0x4d, v47
	v_add_co_ci_u32_e64 v10, s0, v45, v10, s0
	s_clause 0x3
	global_load_dwordx2 v[14:15], v[0:1], off
	global_load_dwordx2 v[38:39], v[2:3], off
	;; [unrolled: 1-line block ×4, first 2 shown]
	v_lshlrev_b64 v[3:4], 3, v[12:13]
	v_mad_u64_u32 v[23:24], null, s2, v11, 0
	v_mov_b32_e32 v2, v17
	v_lshlrev_b64 v[0:1], 3, v[7:8]
	v_add_nc_u32_e32 v12, 0x58, v47
	v_mad_u64_u32 v[40:41], null, s2, v46, 0
	v_mad_u64_u32 v[6:7], null, s3, v6, v[2:3]
	v_mov_b32_e32 v5, v24
	v_add_co_u32 v0, s0, v33, v0
	v_add_co_ci_u32_e64 v1, s0, v45, v1, s0
	v_add_co_u32 v2, s0, v33, v3
	v_mad_u64_u32 v[7:8], null, s3, v11, v[5:6]
	v_mad_u64_u32 v[8:9], null, s2, v12, 0
	v_mov_b32_e32 v17, v6
	v_add_co_ci_u32_e64 v3, s0, v45, v4, s0
	v_mov_b32_e32 v24, v7
	v_lshlrev_b64 v[5:6], 3, v[16:17]
	v_mov_b32_e32 v4, v9
	v_add_nc_u32_e32 v7, 0x63, v47
	v_lshlrev_b64 v[9:10], 3, v[23:24]
	v_mad_u64_u32 v[11:12], null, s3, v12, v[4:5]
	v_mad_u64_u32 v[12:13], null, s2, v7, 0
	v_add_co_u32 v4, s0, v33, v5
	v_add_co_ci_u32_e64 v5, s0, v45, v6, s0
	v_add_co_u32 v23, s0, v33, v9
	v_mov_b32_e32 v6, v13
	v_add_co_ci_u32_e64 v24, s0, v45, v10, s0
	v_mov_b32_e32 v9, v11
	v_mad_u64_u32 v[27:28], null, s3, v7, v[6:7]
	s_clause 0x3
	global_load_dwordx2 v[16:17], v[0:1], off
	global_load_dwordx2 v[10:11], v[2:3], off
	;; [unrolled: 1-line block ×4, first 2 shown]
	v_add_nc_u32_e32 v28, 0x79, v47
	v_lshlrev_b64 v[2:3], 3, v[8:9]
	v_mov_b32_e32 v4, v26
	v_mad_u64_u32 v[8:9], null, s2, v28, 0
	v_mad_u64_u32 v[4:5], null, s3, v29, v[4:5]
	v_add_nc_u32_e32 v29, 0x84, v47
	v_mov_b32_e32 v13, v27
	v_add_co_u32 v2, s0, v33, v2
	v_mov_b32_e32 v5, v9
	v_mad_u64_u32 v[23:24], null, s2, v29, 0
	v_mov_b32_e32 v26, v4
	v_lshlrev_b64 v[12:13], 3, v[12:13]
	v_add_co_ci_u32_e64 v3, s0, v45, v3, s0
	v_lshlrev_b64 v[25:26], 3, v[25:26]
	v_add_co_u32 v12, s0, v33, v12
	v_add_co_ci_u32_e64 v13, s0, v45, v13, s0
	v_add_co_u32 v25, s0, v33, v25
	v_add_co_ci_u32_e64 v26, s0, v45, v26, s0
	s_waitcnt vmcnt(1)
	v_mad_u64_u32 v[4:5], null, s3, v28, v[5:6]
	v_mad_u64_u32 v[27:28], null, s2, v36, 0
	v_mov_b32_e32 v9, v4
	v_mov_b32_e32 v4, v24
	v_lshlrev_b64 v[8:9], 3, v[8:9]
	v_mad_u64_u32 v[4:5], null, s3, v29, v[4:5]
	v_mad_u64_u32 v[29:30], null, s2, v42, 0
	v_mov_b32_e32 v5, v28
	v_add_co_u32 v31, s0, v33, v8
	v_add_co_ci_u32_e64 v32, s0, v45, v9, s0
	v_mov_b32_e32 v24, v4
	v_mad_u64_u32 v[36:37], null, s3, v36, v[5:6]
	v_mov_b32_e32 v4, v30
	v_or_b32_e32 v37, 0xb0, v47
	v_lshlrev_b64 v[23:24], 3, v[23:24]
	v_mad_u64_u32 v[42:43], null, s3, v42, v[4:5]
	v_mad_u64_u32 v[43:44], null, s2, v37, 0
	s_clause 0x3
	global_load_dwordx2 v[2:3], v[2:3], off
	global_load_dwordx2 v[4:5], v[12:13], off
	;; [unrolled: 1-line block ×4, first 2 shown]
	v_mov_b32_e32 v25, v41
	v_mov_b32_e32 v28, v36
	v_add_co_u32 v23, s0, v33, v23
	v_mov_b32_e32 v30, v42
	v_mad_u64_u32 v[25:26], null, s3, v46, v[25:26]
	v_lshlrev_b64 v[27:28], 3, v[27:28]
	v_mov_b32_e32 v26, v44
	v_add_co_ci_u32_e64 v24, s0, v45, v24, s0
	v_lshlrev_b64 v[29:30], 3, v[29:30]
	v_mad_u64_u32 v[31:32], null, s3, v37, v[26:27]
	v_mov_b32_e32 v41, v25
	v_add_co_u32 v25, s0, v33, v27
	v_add_co_ci_u32_e64 v26, s0, v45, v28, s0
	v_lshlrev_b64 v[27:28], 3, v[40:41]
	v_mov_b32_e32 v44, v31
	v_add_co_u32 v29, s0, v33, v29
	v_add_co_ci_u32_e64 v30, s0, v45, v30, s0
	v_lshlrev_b64 v[31:32], 3, v[43:44]
	v_add_co_u32 v27, s0, v33, v27
	v_add_co_ci_u32_e64 v28, s0, v45, v28, s0
	v_add_co_u32 v42, s0, v33, v31
	v_add_co_ci_u32_e64 v43, s0, v45, v32, s0
	s_clause 0x4
	global_load_dwordx2 v[32:33], v[23:24], off
	global_load_dwordx2 v[36:37], v[25:26], off
	global_load_dwordx2 v[40:41], v[29:30], off
	global_load_dwordx2 v[44:45], v[27:28], off
	global_load_dwordx2 v[42:43], v[42:43], off
.LBB0_11:
	s_or_b32 exec_lo, exec_lo, s4
	v_mov_b32_e32 v46, v47
.LBB0_12:
	s_or_b32 exec_lo, exec_lo, s1
	v_mul_hi_u32 v23, 0x24924925, v22
	v_cmp_gt_u32_e64 s0, 11, v47
	v_sub_nc_u32_e32 v24, v22, v23
	v_lshrrev_b32_e32 v24, 1, v24
	v_add_nc_u32_e32 v23, v24, v23
	v_lshrrev_b32_e32 v23, 2, v23
	v_mul_lo_u32 v23, v23, 7
	v_sub_nc_u32_e32 v22, v22, v23
	v_mul_u32_u24_e32 v22, 0xbb, v22
	v_lshlrev_b32_e32 v49, 2, v22
	s_and_saveexec_b32 s1, s0
	s_cbranch_execz .LBB0_14
; %bb.13:
	s_waitcnt vmcnt(0)
	v_add_f32_e32 v30, v38, v42
	v_sub_f32_e32 v25, v39, v43
	v_add_f32_e32 v48, v34, v44
	v_sub_f32_e32 v26, v35, v45
	v_add_f32_e32 v31, v18, v40
	v_mul_f32_e32 v50, 0xbf7ba420, v30
	v_sub_f32_e32 v24, v19, v41
	v_mul_f32_e32 v51, 0x3f6eb680, v48
	v_add_f32_e32 v28, v16, v36
	v_mul_f32_e32 v52, 0xbf59a7d5, v31
	v_fmamk_f32 v27, v25, 0x3e3c28d5, v50
	v_fmac_f32_e32 v50, 0xbe3c28d5, v25
	v_fmamk_f32 v53, v26, 0xbeb8f4ab, v51
	v_sub_f32_e32 v22, v17, v37
	v_mul_f32_e32 v55, 0x3f3d2fb0, v28
	v_add_f32_e32 v54, v14, v27
	v_fmamk_f32 v56, v24, 0x3f06c442, v52
	v_fmac_f32_e32 v51, 0x3eb8f4ab, v26
	v_add_f32_e32 v58, v14, v50
	v_add_f32_e32 v29, v10, v32
	;; [unrolled: 1-line block ×3, first 2 shown]
	v_fmamk_f32 v54, v22, 0xbf2c7751, v55
	v_fmac_f32_e32 v52, 0xbf06c442, v24
	v_add_f32_e32 v58, v58, v51
	v_sub_f32_e32 v23, v11, v33
	v_add_f32_e32 v53, v53, v56
	v_add_f32_e32 v27, v6, v12
	v_mul_f32_e32 v57, 0xbf1a4643, v29
	v_fmac_f32_e32 v55, 0x3f2c7751, v22
	v_mul_f32_e32 v61, 0xbf59a7d5, v30
	v_add_f32_e32 v53, v53, v54
	v_add_f32_e32 v54, v58, v52
	v_sub_f32_e32 v50, v7, v13
	v_fmamk_f32 v56, v23, 0x3f4c4adb, v57
	v_mul_f32_e32 v59, 0x3ee437d1, v27
	v_add_f32_e32 v51, v0, v8
	v_add_f32_e32 v55, v54, v55
	v_fmac_f32_e32 v57, 0xbf4c4adb, v23
	v_fmamk_f32 v62, v25, 0x3f06c442, v61
	v_mul_f32_e32 v63, 0x3ee437d1, v48
	v_add_f32_e32 v56, v53, v56
	v_fmamk_f32 v58, v50, 0xbf65296c, v59
	v_mul_f32_e32 v60, 0xbe8c1d8e, v51
	v_sub_f32_e32 v52, v1, v9
	v_add_f32_e32 v53, v2, v4
	v_add_f32_e32 v55, v55, v57
	;; [unrolled: 1-line block ×3, first 2 shown]
	v_fmamk_f32 v62, v26, 0xbf65296c, v63
	v_mul_f32_e32 v65, 0x3dbcf732, v31
	v_add_f32_e32 v56, v56, v58
	v_fmamk_f32 v58, v52, 0x3f763a35, v60
	v_mul_f32_e32 v64, 0x3dbcf732, v53
	v_sub_f32_e32 v54, v3, v5
	v_add_f32_e32 v57, v57, v62
	v_fmamk_f32 v62, v24, 0x3f7ee86f, v65
	v_mul_f32_e32 v66, 0xbf1a4643, v28
	v_fmac_f32_e32 v59, 0x3f65296c, v50
	v_add_f32_e32 v56, v56, v58
	v_fmamk_f32 v58, v54, 0xbf7ee86f, v64
	v_fmac_f32_e32 v61, 0xbf06c442, v25
	v_add_f32_e32 v57, v57, v62
	v_fmamk_f32 v62, v22, 0xbf4c4adb, v66
	v_mul_f32_e32 v67, 0x3f6eb680, v29
	v_add_f32_e32 v59, v55, v59
	v_fmac_f32_e32 v60, 0xbf763a35, v52
	v_add_f32_e32 v55, v56, v58
	v_add_f32_e32 v56, v14, v61
	v_fmac_f32_e32 v63, 0x3f65296c, v26
	v_add_f32_e32 v57, v57, v62
	v_fmamk_f32 v58, v23, 0x3eb8f4ab, v67
	v_mul_f32_e32 v61, 0xbf7ba420, v27
	v_add_f32_e32 v59, v59, v60
	v_add_f32_e32 v56, v56, v63
	v_fmac_f32_e32 v65, 0xbf7ee86f, v24
	v_add_f32_e32 v57, v57, v58
	v_fmamk_f32 v58, v50, 0x3e3c28d5, v61
	v_mul_f32_e32 v60, 0xbf1a4643, v30
	v_mul_f32_e32 v62, 0x3f3d2fb0, v51
	v_add_f32_e32 v56, v56, v65
	v_fmac_f32_e32 v66, 0x3f4c4adb, v22
	v_add_f32_e32 v57, v57, v58
	v_fmamk_f32 v58, v25, 0x3f4c4adb, v60
	v_mul_f32_e32 v63, 0xbe8c1d8e, v48
	v_fmamk_f32 v65, v52, 0xbf2c7751, v62
	v_add_f32_e32 v56, v56, v66
	v_fmac_f32_e32 v67, 0xbeb8f4ab, v23
	v_add_f32_e32 v58, v14, v58
	v_fmamk_f32 v66, v26, 0xbf763a35, v63
	v_mul_f32_e32 v68, 0x3f6eb680, v31
	v_add_f32_e32 v57, v57, v65
	v_add_f32_e32 v56, v56, v67
	v_fmac_f32_e32 v61, 0xbe3c28d5, v50
	v_add_f32_e32 v58, v58, v66
	v_fmamk_f32 v65, v24, 0x3eb8f4ab, v68
	v_mul_f32_e32 v66, 0xbf59a7d5, v28
	v_fmac_f32_e32 v64, 0x3f7ee86f, v54
	v_add_f32_e32 v56, v56, v61
	v_mul_f32_e32 v67, 0xbe8c1d8e, v53
	v_add_f32_e32 v58, v58, v65
	v_fmamk_f32 v61, v22, 0x3f06c442, v66
	v_mul_f32_e32 v65, 0x3dbcf732, v29
	v_fmac_f32_e32 v62, 0x3f2c7751, v52
	v_add_f32_e32 v59, v59, v64
	v_mul_f32_e32 v64, 0x3f3d2fb0, v27
	v_add_f32_e32 v58, v58, v61
	v_fmamk_f32 v61, v23, 0xbf7ee86f, v65
	v_fmamk_f32 v69, v54, 0x3f763a35, v67
	v_fmac_f32_e32 v60, 0xbf4c4adb, v25
	v_add_f32_e32 v56, v56, v62
	v_mul_f32_e32 v62, 0xbf7ba420, v51
	v_add_f32_e32 v58, v58, v61
	v_fmamk_f32 v61, v50, 0x3f2c7751, v64
	v_add_f32_e32 v57, v57, v69
	v_add_f32_e32 v60, v14, v60
	v_fmac_f32_e32 v63, 0x3f763a35, v26
	v_mul_f32_e32 v69, 0xbe8c1d8e, v30
	v_add_f32_e32 v58, v58, v61
	v_fmamk_f32 v61, v52, 0x3e3c28d5, v62
	v_fmac_f32_e32 v67, 0xbf763a35, v54
	v_add_f32_e32 v60, v60, v63
	v_fmac_f32_e32 v68, 0xbeb8f4ab, v24
	v_mul_f32_e32 v63, 0xbf59a7d5, v48
	v_add_f32_e32 v58, v58, v61
	v_fmamk_f32 v61, v25, 0x3f763a35, v69
	v_add_f32_e32 v56, v56, v67
	v_add_f32_e32 v60, v60, v68
	v_fmac_f32_e32 v66, 0xbf06c442, v22
	v_mul_f32_e32 v67, 0x3ee437d1, v53
	v_add_f32_e32 v61, v14, v61
	v_fmamk_f32 v68, v26, 0xbf06c442, v63
	v_mul_f32_e32 v70, 0x3f3d2fb0, v31
	v_add_f32_e32 v60, v60, v66
	v_fmac_f32_e32 v65, 0x3f7ee86f, v23
	v_fmamk_f32 v66, v54, 0xbf65296c, v67
	v_add_f32_e32 v61, v61, v68
	v_fmamk_f32 v68, v24, 0xbf2c7751, v70
	v_mul_f32_e32 v71, 0x3ee437d1, v28
	v_add_f32_e32 v60, v60, v65
	v_fmac_f32_e32 v64, 0xbf2c7751, v50
	v_add_f32_e32 v58, v58, v66
	v_add_f32_e32 v61, v61, v68
	v_fmamk_f32 v65, v22, 0x3f65296c, v71
	v_mul_f32_e32 v66, 0xbf7ba420, v29
	v_add_f32_e32 v60, v60, v64
	v_fmac_f32_e32 v62, 0xbe3c28d5, v52
	v_fmac_f32_e32 v69, 0xbf763a35, v25
	v_add_f32_e32 v61, v61, v65
	v_fmamk_f32 v64, v23, 0x3e3c28d5, v66
	v_mul_f32_e32 v65, 0x3dbcf732, v27
	v_add_f32_e32 v60, v60, v62
	v_add_f32_e32 v62, v14, v69
	v_fmac_f32_e32 v63, 0x3f06c442, v26
	v_add_f32_e32 v61, v61, v64
	v_fmamk_f32 v64, v50, 0xbf7ee86f, v65
	v_mul_f32_e32 v68, 0x3f6eb680, v51
	v_fmac_f32_e32 v67, 0x3f65296c, v54
	v_add_f32_e32 v62, v62, v63
	v_fmac_f32_e32 v70, 0x3f2c7751, v24
	v_add_f32_e32 v61, v61, v64
	v_fmamk_f32 v63, v52, 0x3eb8f4ab, v68
	v_mul_f32_e32 v64, 0x3dbcf732, v30
	v_add_f32_e32 v60, v60, v67
	v_add_f32_e32 v62, v62, v70
	v_fmac_f32_e32 v71, 0xbf65296c, v22
	v_add_f32_e32 v61, v61, v63
	v_mul_f32_e32 v63, 0xbf1a4643, v53
	v_fmamk_f32 v67, v25, 0x3f7ee86f, v64
	v_mul_f32_e32 v69, 0xbf7ba420, v48
	v_add_f32_e32 v62, v62, v71
	v_fmac_f32_e32 v66, 0xbe3c28d5, v23
	v_fmamk_f32 v70, v54, 0x3f4c4adb, v63
	v_add_f32_e32 v67, v14, v67
	v_fmamk_f32 v71, v26, 0x3e3c28d5, v69
	v_mul_f32_e32 v72, 0xbe8c1d8e, v31
	v_add_f32_e32 v62, v62, v66
	v_fmac_f32_e32 v65, 0x3f7ee86f, v50
	v_add_f32_e32 v61, v61, v70
	v_add_f32_e32 v66, v67, v71
	v_fmamk_f32 v67, v24, 0xbf763a35, v72
	v_mul_f32_e32 v70, 0x3f6eb680, v28
	v_add_f32_e32 v62, v62, v65
	v_fmac_f32_e32 v68, 0xbeb8f4ab, v52
	v_fmac_f32_e32 v64, 0xbf7ee86f, v25
	v_add_f32_e32 v65, v66, v67
	v_fmamk_f32 v66, v22, 0xbeb8f4ab, v70
	v_mul_f32_e32 v67, 0x3ee437d1, v29
	v_add_f32_e32 v62, v62, v68
	v_add_f32_e32 v64, v14, v64
	v_fmac_f32_e32 v69, 0xbe3c28d5, v26
	v_add_f32_e32 v65, v65, v66
	v_fmamk_f32 v66, v23, 0x3f65296c, v67
	v_mul_f32_e32 v68, 0xbf59a7d5, v27
	v_fmac_f32_e32 v63, 0xbf4c4adb, v54
	v_add_f32_e32 v64, v64, v69
	v_fmac_f32_e32 v72, 0x3f763a35, v24
	v_add_f32_e32 v65, v65, v66
	v_fmamk_f32 v66, v50, 0x3f06c442, v68
	v_mul_f32_e32 v69, 0xbf1a4643, v51
	v_add_f32_e32 v62, v62, v63
	v_add_f32_e32 v63, v64, v72
	v_fmac_f32_e32 v70, 0x3eb8f4ab, v22
	v_add_f32_e32 v64, v65, v66
	v_fmamk_f32 v65, v52, 0xbf4c4adb, v69
	v_mul_f32_e32 v66, 0x3f3d2fb0, v53
	v_mul_f32_e32 v71, 0x3ee437d1, v30
	v_add_f32_e32 v63, v63, v70
	v_fmac_f32_e32 v67, 0xbf65296c, v23
	v_add_f32_e32 v64, v64, v65
	v_fmamk_f32 v65, v54, 0xbf2c7751, v66
	v_fmamk_f32 v70, v25, 0x3f65296c, v71
	v_mul_f32_e32 v72, 0xbf1a4643, v48
	v_add_f32_e32 v63, v63, v67
	v_fmac_f32_e32 v68, 0xbf06c442, v50
	v_add_f32_e32 v64, v64, v65
	v_add_f32_e32 v65, v14, v70
	v_fmamk_f32 v67, v26, 0x3f4c4adb, v72
	v_mul_f32_e32 v70, 0xbf7ba420, v31
	v_add_f32_e32 v63, v63, v68
	v_fmac_f32_e32 v69, 0x3f4c4adb, v52
	v_fmac_f32_e32 v71, 0xbf65296c, v25
	v_add_f32_e32 v65, v65, v67
	v_fmamk_f32 v67, v24, 0xbe3c28d5, v70
	v_mul_f32_e32 v68, 0xbe8c1d8e, v28
	v_add_f32_e32 v63, v63, v69
	v_add_f32_e32 v69, v14, v71
	v_fmac_f32_e32 v72, 0xbf4c4adb, v26
	v_add_f32_e32 v65, v65, v67
	v_fmamk_f32 v67, v22, 0xbf763a35, v68
	v_mul_f32_e32 v71, 0x3f3d2fb0, v29
	v_fmac_f32_e32 v66, 0x3f2c7751, v54
	v_add_f32_e32 v69, v69, v72
	v_fmac_f32_e32 v70, 0x3e3c28d5, v24
	v_add_f32_e32 v65, v65, v67
	v_fmamk_f32 v67, v23, 0xbf2c7751, v71
	v_mul_f32_e32 v72, 0x3f6eb680, v27
	v_add_f32_e32 v63, v63, v66
	v_add_f32_e32 v66, v69, v70
	v_fmac_f32_e32 v68, 0x3f763a35, v22
	v_add_f32_e32 v65, v65, v67
	v_fmamk_f32 v67, v50, 0x3eb8f4ab, v72
	v_mul_f32_e32 v69, 0x3dbcf732, v51
	v_mul_f32_e32 v70, 0x3f3d2fb0, v30
	v_add_f32_e32 v66, v66, v68
	v_fmac_f32_e32 v71, 0x3f2c7751, v23
	v_add_f32_e32 v65, v65, v67
	v_fmamk_f32 v67, v52, 0x3f7ee86f, v69
	v_fmamk_f32 v68, v25, 0x3f2c7751, v70
	v_mul_f32_e32 v73, 0x3dbcf732, v48
	v_add_f32_e32 v66, v66, v71
	v_mul_f32_e32 v71, 0xbf1a4643, v31
	v_add_f32_e32 v65, v65, v67
	v_add_f32_e32 v67, v14, v68
	v_fmamk_f32 v68, v26, 0x3f7ee86f, v73
	v_mul_f32_e32 v74, 0xbf7ba420, v28
	v_fmac_f32_e32 v70, 0xbf2c7751, v25
	v_mul_f32_e32 v75, 0xbf59a7d5, v29
	v_fmac_f32_e32 v73, 0xbf7ee86f, v26
	v_add_f32_e32 v67, v67, v68
	v_fmamk_f32 v68, v24, 0x3f4c4adb, v71
	v_add_f32_e32 v70, v14, v70
	v_mul_f32_e32 v76, 0xbe8c1d8e, v27
	v_fmac_f32_e32 v71, 0xbf4c4adb, v24
	v_mul_f32_e32 v77, 0x3ee437d1, v51
	v_add_f32_e32 v67, v67, v68
	v_fmamk_f32 v68, v22, 0x3e3c28d5, v74
	v_add_f32_e32 v70, v70, v73
	v_add_f32_e32 v73, v14, v38
	v_mul_f32_e32 v30, 0x3f6eb680, v30
	v_mul_f32_e32 v48, 0x3f3d2fb0, v48
	v_add_f32_e32 v67, v67, v68
	v_fmamk_f32 v68, v23, 0xbf06c442, v75
	v_add_f32_e32 v73, v73, v34
	v_add_f32_e32 v70, v70, v71
	v_fmamk_f32 v71, v52, 0xbf65296c, v77
	v_mul_f32_e32 v31, 0x3ee437d1, v31
	v_add_f32_e32 v67, v67, v68
	v_fmamk_f32 v68, v50, 0xbf763a35, v76
	v_mul_f32_e32 v28, 0x3dbcf732, v28
	v_mul_f32_e32 v29, 0xbe8c1d8e, v29
	v_fmac_f32_e32 v74, 0xbe3c28d5, v22
	v_fmac_f32_e32 v75, 0x3f06c442, v23
	v_add_f32_e32 v67, v67, v68
	v_add_f32_e32 v68, v73, v18
	v_fmac_f32_e32 v72, 0xbeb8f4ab, v50
	v_add_f32_e32 v70, v70, v74
	v_fmac_f32_e32 v76, 0x3f763a35, v50
	v_add_f32_e32 v67, v67, v71
	v_add_f32_e32 v68, v68, v16
	v_fmamk_f32 v71, v25, 0x3eb8f4ab, v30
	v_fmac_f32_e32 v30, 0xbeb8f4ab, v25
	v_fmamk_f32 v25, v26, 0x3f2c7751, v48
	v_fmac_f32_e32 v48, 0xbf2c7751, v26
	v_add_f32_e32 v68, v68, v10
	v_add_f32_e32 v70, v70, v75
	;; [unrolled: 1-line block ×6, first 2 shown]
	v_fmamk_f32 v68, v24, 0x3f65296c, v31
	v_add_f32_e32 v30, v30, v48
	v_fmac_f32_e32 v31, 0xbf65296c, v24
	v_add_f32_e32 v14, v14, v25
	v_add_f32_e32 v26, v26, v0
	v_fmamk_f32 v25, v22, 0x3f7ee86f, v28
	v_fmac_f32_e32 v28, 0xbf7ee86f, v22
	v_add_f32_e32 v30, v30, v31
	v_add_f32_e32 v14, v14, v68
	;; [unrolled: 1-line block ×3, first 2 shown]
	v_fmamk_f32 v22, v23, 0x3f763a35, v29
	v_fmac_f32_e32 v29, 0xbf763a35, v23
	v_add_f32_e32 v28, v30, v28
	v_mul_f32_e32 v23, 0xbf1a4643, v27
	v_add_f32_e32 v26, v26, v4
	v_add_f32_e32 v14, v14, v25
	v_fmac_f32_e32 v69, 0xbf7ee86f, v52
	v_add_f32_e32 v25, v28, v29
	v_fmamk_f32 v27, v50, 0x3f4c4adb, v23
	v_add_f32_e32 v26, v8, v26
	v_fmac_f32_e32 v23, 0xbf4c4adb, v50
	v_mul_f32_e32 v28, 0xbf59a7d5, v51
	v_add_f32_e32 v14, v14, v22
	v_mul_f32_e32 v29, 0xbf7ba420, v53
	v_add_f32_e32 v26, v12, v26
	v_add_f32_e32 v23, v25, v23
	v_mul_f32_e32 v72, 0xbf59a7d5, v53
	v_add_f32_e32 v24, v70, v76
	v_fmac_f32_e32 v77, 0x3f65296c, v52
	v_add_f32_e32 v26, v32, v26
	v_mul_f32_e32 v22, 0x3f6eb680, v53
	v_add_f32_e32 v14, v14, v27
	v_mul_u32_u24_e32 v30, 0x44, v47
	v_add_f32_e32 v66, v66, v69
	v_add_f32_e32 v25, v36, v26
	v_fmamk_f32 v26, v52, 0x3f06c442, v28
	v_fmac_f32_e32 v28, 0xbf06c442, v52
	v_fmamk_f32 v69, v54, 0x3f06c442, v72
	v_fmac_f32_e32 v72, 0xbf06c442, v54
	v_add_f32_e32 v25, v40, v25
	v_add_f32_e32 v24, v24, v77
	;; [unrolled: 1-line block ×3, first 2 shown]
	v_fmamk_f32 v28, v54, 0x3e3c28d5, v29
	v_fmac_f32_e32 v29, 0xbe3c28d5, v54
	v_add_f32_e32 v25, v44, v25
	v_fmamk_f32 v27, v54, 0xbeb8f4ab, v22
	v_fmac_f32_e32 v22, 0x3eb8f4ab, v54
	v_add_f32_e32 v14, v14, v26
	v_add_f32_e32 v23, v23, v29
	;; [unrolled: 1-line block ×3, first 2 shown]
	v_add3_u32 v26, 0, v30, v49
	v_add_f32_e32 v66, v66, v72
	v_add_f32_e32 v22, v24, v22
	;; [unrolled: 1-line block ×5, first 2 shown]
	ds_write2_b32 v26, v25, v23 offset1:1
	ds_write2_b32 v26, v22, v66 offset0:2 offset1:3
	ds_write2_b32 v26, v63, v62 offset0:4 offset1:5
	;; [unrolled: 1-line block ×7, first 2 shown]
	ds_write_b32 v26, v14 offset:64
.LBB0_14:
	s_or_b32 exec_lo, exec_lo, s1
	v_lshlrev_b32_e32 v22, 2, v47
	s_waitcnt vmcnt(0) lgkmcnt(0)
	s_barrier
	buffer_gl0_inv
	v_add_nc_u32_e32 v14, 0, v22
	v_add3_u32 v50, 0, v49, v22
	v_add_nc_u32_e32 v51, v14, v49
	ds_read_b32 v48, v50
	ds_read2_b32 v[28:29], v51 offset0:17 offset1:34
	ds_read2_b32 v[24:25], v51 offset0:51 offset1:68
	;; [unrolled: 1-line block ×5, first 2 shown]
	s_waitcnt lgkmcnt(0)
	s_barrier
	buffer_gl0_inv
	s_and_saveexec_b32 s1, s0
	s_cbranch_execz .LBB0_16
; %bb.15:
	v_add_f32_e32 v52, v15, v39
	v_sub_f32_e32 v38, v38, v42
	v_add_f32_e32 v42, v35, v45
	v_add_f32_e32 v39, v39, v43
	v_sub_f32_e32 v34, v34, v44
	v_add_f32_e32 v35, v52, v35
	v_mul_f32_e32 v44, 0xbeb8f4ab, v38
	v_mul_f32_e32 v52, 0xbf2c7751, v38
	;; [unrolled: 1-line block ×4, first 2 shown]
	v_add_f32_e32 v35, v35, v19
	v_mul_f32_e32 v55, 0xbf763a35, v38
	v_mul_f32_e32 v56, 0xbf4c4adb, v38
	;; [unrolled: 1-line block ×4, first 2 shown]
	v_add_f32_e32 v35, v35, v17
	v_mul_f32_e32 v58, 0xbf2c7751, v34
	v_fma_f32 v63, 0x3f6eb680, v39, -v44
	v_fmac_f32_e32 v44, 0x3f6eb680, v39
	v_fma_f32 v64, 0x3f3d2fb0, v39, -v52
	v_add_f32_e32 v35, v35, v11
	v_fmac_f32_e32 v52, 0x3f3d2fb0, v39
	v_fma_f32 v65, 0x3ee437d1, v39, -v53
	v_fmac_f32_e32 v53, 0x3ee437d1, v39
	v_fma_f32 v66, 0x3dbcf732, v39, -v54
	v_add_f32_e32 v35, v35, v7
	v_fmac_f32_e32 v54, 0x3dbcf732, v39
	;; [unrolled: 5-line block ×4, first 2 shown]
	v_mul_f32_e32 v60, 0xbf4c4adb, v34
	v_mul_f32_e32 v61, 0xbe3c28d5, v34
	v_fma_f32 v39, 0x3f3d2fb0, v42, -v58
	v_add_f32_e32 v35, v35, v5
	v_fmac_f32_e32 v58, 0x3f3d2fb0, v42
	v_add_f32_e32 v63, v15, v63
	v_add_f32_e32 v44, v15, v44
	;; [unrolled: 1-line block ×20, first 2 shown]
	v_fma_f32 v72, 0xbf1a4643, v42, -v60
	v_fmac_f32_e32 v60, 0xbf1a4643, v42
	v_mul_f32_e32 v59, 0xbf7ee86f, v34
	v_add_f32_e32 v35, v41, v35
	v_mul_f32_e32 v62, 0x3f06c442, v34
	v_sub_f32_e32 v18, v18, v40
	v_add_f32_e32 v53, v53, v60
	v_fma_f32 v71, 0x3dbcf732, v42, -v59
	v_add_f32_e32 v15, v45, v35
	v_add_f32_e32 v35, v44, v58
	v_mul_f32_e32 v58, 0x3f763a35, v34
	v_fmac_f32_e32 v59, 0x3dbcf732, v42
	v_add_f32_e32 v19, v19, v41
	v_add_f32_e32 v15, v43, v15
	v_fma_f32 v43, 0xbf7ba420, v42, -v61
	v_fmac_f32_e32 v61, 0xbf7ba420, v42
	v_fma_f32 v60, 0xbe8c1d8e, v42, -v58
	v_fmac_f32_e32 v58, 0xbe8c1d8e, v42
	v_mul_f32_e32 v41, 0xbf65296c, v18
	v_add_f32_e32 v39, v63, v39
	v_add_f32_e32 v54, v54, v61
	v_mul_f32_e32 v61, 0x3f65296c, v34
	v_mul_f32_e32 v34, 0x3eb8f4ab, v34
	v_add_f32_e32 v56, v56, v58
	v_add_f32_e32 v45, v52, v59
	v_fma_f32 v59, 0xbf59a7d5, v42, -v62
	v_fma_f32 v40, 0x3ee437d1, v42, -v61
	v_fmac_f32_e32 v61, 0x3ee437d1, v42
	v_fma_f32 v58, 0x3f6eb680, v42, -v34
	v_fmac_f32_e32 v34, 0x3f6eb680, v42
	v_fmac_f32_e32 v62, 0xbf59a7d5, v42
	v_add_f32_e32 v44, v64, v71
	v_add_f32_e32 v42, v57, v61
	;; [unrolled: 1-line block ×3, first 2 shown]
	v_fma_f32 v58, 0x3ee437d1, v19, -v41
	v_mul_f32_e32 v61, 0xbf4c4adb, v18
	v_add_f32_e32 v34, v38, v34
	v_fmac_f32_e32 v41, 0x3ee437d1, v19
	v_mul_f32_e32 v38, 0x3e3c28d5, v18
	v_add_f32_e32 v52, v65, v72
	v_add_f32_e32 v55, v55, v62
	;; [unrolled: 1-line block ×3, first 2 shown]
	v_fma_f32 v58, 0xbf1a4643, v19, -v61
	v_add_f32_e32 v35, v35, v41
	v_fma_f32 v41, 0xbf7ba420, v19, -v38
	v_mul_f32_e32 v62, 0x3f763a35, v18
	v_add_f32_e32 v43, v66, v43
	v_add_f32_e32 v44, v44, v58
	v_mul_f32_e32 v58, 0x3f2c7751, v18
	v_add_f32_e32 v41, v52, v41
	v_fma_f32 v52, 0xbe8c1d8e, v19, -v62
	v_fmac_f32_e32 v62, 0xbe8c1d8e, v19
	v_add_f32_e32 v59, v67, v59
	v_fmac_f32_e32 v38, 0xbf7ba420, v19
	v_add_f32_e32 v40, v69, v40
	v_add_f32_e32 v43, v43, v52
	v_fma_f32 v52, 0x3f3d2fb0, v19, -v58
	v_add_f32_e32 v54, v54, v62
	v_mul_f32_e32 v62, 0xbf7ee86f, v18
	v_fmac_f32_e32 v61, 0xbf1a4643, v19
	v_add_f32_e32 v38, v53, v38
	v_mul_f32_e32 v53, 0xbeb8f4ab, v18
	v_add_f32_e32 v52, v59, v52
	v_fma_f32 v59, 0x3dbcf732, v19, -v62
	v_mul_f32_e32 v18, 0xbf06c442, v18
	v_sub_f32_e32 v16, v16, v36
	v_add_f32_e32 v45, v45, v61
	v_fma_f32 v61, 0x3f6eb680, v19, -v53
	v_fmac_f32_e32 v53, 0x3f6eb680, v19
	v_add_f32_e32 v36, v40, v59
	v_fma_f32 v40, 0xbf59a7d5, v19, -v18
	v_add_f32_e32 v17, v17, v37
	v_mul_f32_e32 v37, 0xbf7ee86f, v16
	v_fmac_f32_e32 v18, 0xbf59a7d5, v19
	v_add_f32_e32 v53, v56, v53
	v_fmac_f32_e32 v58, 0x3f3d2fb0, v19
	v_fmac_f32_e32 v62, 0x3dbcf732, v19
	v_fma_f32 v56, 0x3dbcf732, v17, -v37
	v_fmac_f32_e32 v37, 0x3dbcf732, v17
	v_add_f32_e32 v18, v34, v18
	v_mul_f32_e32 v34, 0x3f763a35, v16
	v_add_f32_e32 v19, v57, v40
	v_mul_f32_e32 v40, 0xbe3c28d5, v16
	v_add_f32_e32 v35, v35, v37
	v_add_f32_e32 v39, v39, v56
	v_fma_f32 v37, 0xbe8c1d8e, v17, -v34
	v_mul_f32_e32 v56, 0x3eb8f4ab, v16
	v_fma_f32 v57, 0xbf7ba420, v17, -v40
	v_fmac_f32_e32 v40, 0xbf7ba420, v17
	v_fmac_f32_e32 v34, 0xbe8c1d8e, v17
	v_add_f32_e32 v37, v41, v37
	v_mul_f32_e32 v41, 0xbf65296c, v16
	v_add_f32_e32 v55, v55, v58
	v_add_f32_e32 v44, v44, v57
	;; [unrolled: 1-line block ×3, first 2 shown]
	v_fma_f32 v45, 0x3f6eb680, v17, -v56
	v_add_f32_e32 v34, v38, v34
	v_fmac_f32_e32 v56, 0x3f6eb680, v17
	v_mul_f32_e32 v38, 0xbf06c442, v16
	v_fma_f32 v57, 0x3ee437d1, v17, -v41
	v_fmac_f32_e32 v41, 0x3ee437d1, v17
	v_add_f32_e32 v43, v43, v45
	v_add_f32_e32 v45, v54, v56
	v_fma_f32 v54, 0xbf59a7d5, v17, -v38
	v_fmac_f32_e32 v38, 0xbf59a7d5, v17
	v_add_f32_e32 v41, v55, v41
	v_mul_f32_e32 v55, 0x3f4c4adb, v16
	v_mul_f32_e32 v16, 0x3f2c7751, v16
	v_sub_f32_e32 v10, v10, v32
	v_add_f32_e32 v42, v42, v62
	v_add_f32_e32 v38, v53, v38
	v_fma_f32 v32, 0xbf1a4643, v17, -v55
	v_fmac_f32_e32 v55, 0xbf1a4643, v17
	v_fma_f32 v53, 0x3f3d2fb0, v17, -v16
	v_add_f32_e32 v11, v11, v33
	v_mul_f32_e32 v33, 0xbf763a35, v10
	v_fmac_f32_e32 v16, 0x3f3d2fb0, v17
	v_add_f32_e32 v32, v36, v32
	v_add_f32_e32 v17, v42, v55
	v_mul_f32_e32 v42, 0x3f06c442, v10
	v_fma_f32 v36, 0xbe8c1d8e, v11, -v33
	v_add_f32_e32 v16, v18, v16
	v_fmac_f32_e32 v33, 0xbe8c1d8e, v11
	v_mul_f32_e32 v18, 0x3f2c7751, v10
	v_add_f32_e32 v60, v68, v60
	v_add_f32_e32 v19, v19, v53
	;; [unrolled: 1-line block ×3, first 2 shown]
	v_fma_f32 v39, 0xbf59a7d5, v11, -v42
	v_fmac_f32_e32 v42, 0xbf59a7d5, v11
	v_add_f32_e32 v33, v35, v33
	v_fma_f32 v35, 0x3f3d2fb0, v11, -v18
	v_mul_f32_e32 v53, 0xbf65296c, v10
	v_fmac_f32_e32 v18, 0x3f3d2fb0, v11
	v_add_f32_e32 v58, v60, v61
	v_add_f32_e32 v40, v40, v42
	v_add_f32_e32 v35, v37, v35
	v_fma_f32 v37, 0x3ee437d1, v11, -v53
	v_mul_f32_e32 v42, 0xbe3c28d5, v10
	v_fmac_f32_e32 v53, 0x3ee437d1, v11
	v_add_f32_e32 v18, v34, v18
	v_mul_f32_e32 v34, 0x3f7ee86f, v10
	v_add_f32_e32 v54, v58, v54
	v_add_f32_e32 v39, v44, v39
	;; [unrolled: 1-line block ×3, first 2 shown]
	v_fma_f32 v43, 0xbf7ba420, v11, -v42
	v_add_f32_e32 v44, v45, v53
	v_fmac_f32_e32 v42, 0xbf7ba420, v11
	v_fma_f32 v45, 0x3dbcf732, v11, -v34
	v_mul_f32_e32 v53, 0xbeb8f4ab, v10
	v_mul_f32_e32 v10, 0xbf4c4adb, v10
	v_sub_f32_e32 v6, v6, v12
	v_add_f32_e32 v41, v41, v42
	v_add_f32_e32 v42, v54, v45
	v_fma_f32 v45, 0x3f6eb680, v11, -v53
	v_add_f32_e32 v7, v7, v13
	v_mul_f32_e32 v13, 0xbf4c4adb, v6
	v_fmac_f32_e32 v34, 0x3dbcf732, v11
	v_fmac_f32_e32 v53, 0x3f6eb680, v11
	v_add_f32_e32 v12, v32, v45
	v_fma_f32 v32, 0xbf1a4643, v11, -v10
	v_fmac_f32_e32 v10, 0xbf1a4643, v11
	v_add_f32_e32 v34, v38, v34
	v_sub_f32_e32 v0, v0, v8
	v_add_f32_e32 v17, v17, v53
	v_add_f32_e32 v11, v19, v32
	v_mul_f32_e32 v19, 0x3f763a35, v6
	v_fma_f32 v32, 0xbf1a4643, v7, -v13
	v_fmac_f32_e32 v13, 0xbf1a4643, v7
	v_add_f32_e32 v10, v16, v10
	v_mul_f32_e32 v16, 0xbeb8f4ab, v6
	v_fma_f32 v38, 0xbe8c1d8e, v7, -v19
	v_add_f32_e32 v32, v36, v32
	v_add_f32_e32 v13, v33, v13
	v_fmac_f32_e32 v19, 0xbe8c1d8e, v7
	v_fma_f32 v33, 0x3f6eb680, v7, -v16
	v_add_f32_e32 v36, v39, v38
	v_mul_f32_e32 v38, 0xbf06c442, v6
	v_fmac_f32_e32 v16, 0x3f6eb680, v7
	v_add_f32_e32 v19, v40, v19
	v_add_f32_e32 v33, v35, v33
	v_mul_f32_e32 v35, 0x3f7ee86f, v6
	v_fma_f32 v39, 0xbf59a7d5, v7, -v38
	v_add_f32_e32 v16, v18, v16
	v_mul_f32_e32 v18, 0xbf2c7751, v6
	v_add_f32_e32 v1, v1, v9
	v_fma_f32 v40, 0x3dbcf732, v7, -v35
	v_fmac_f32_e32 v35, 0x3dbcf732, v7
	v_add_f32_e32 v37, v37, v39
	v_fma_f32 v39, 0x3f3d2fb0, v7, -v18
	v_fmac_f32_e32 v18, 0x3f3d2fb0, v7
	v_mul_f32_e32 v9, 0xbf06c442, v0
	v_add_f32_e32 v35, v41, v35
	v_mul_f32_e32 v41, 0xbe3c28d5, v6
	v_mul_f32_e32 v6, 0x3f65296c, v6
	v_add_f32_e32 v18, v34, v18
	v_fmac_f32_e32 v38, 0xbf59a7d5, v7
	v_add_f32_e32 v39, v42, v39
	v_fma_f32 v8, 0xbf7ba420, v7, -v41
	v_fmac_f32_e32 v41, 0xbf7ba420, v7
	v_fma_f32 v34, 0x3ee437d1, v7, -v6
	v_fmac_f32_e32 v6, 0x3ee437d1, v7
	v_add_f32_e32 v38, v44, v38
	v_add_f32_e32 v8, v12, v8
	;; [unrolled: 1-line block ×3, first 2 shown]
	v_fma_f32 v12, 0xbf59a7d5, v1, -v9
	v_mul_f32_e32 v17, 0x3f65296c, v0
	v_add_f32_e32 v6, v10, v6
	v_fmac_f32_e32 v9, 0xbf59a7d5, v1
	v_mul_f32_e32 v10, 0xbf7ee86f, v0
	v_add_f32_e32 v11, v11, v34
	v_add_f32_e32 v12, v32, v12
	v_fma_f32 v32, 0x3ee437d1, v1, -v17
	v_fmac_f32_e32 v17, 0x3ee437d1, v1
	v_add_f32_e32 v9, v13, v9
	v_fma_f32 v13, 0x3dbcf732, v1, -v10
	v_mul_f32_e32 v34, 0x3f4c4adb, v0
	v_fmac_f32_e32 v10, 0x3dbcf732, v1
	v_add_f32_e32 v17, v19, v17
	v_add_f32_e32 v32, v36, v32
	;; [unrolled: 1-line block ×3, first 2 shown]
	v_fma_f32 v19, 0xbf1a4643, v1, -v34
	v_mul_f32_e32 v33, 0xbeb8f4ab, v0
	v_fmac_f32_e32 v34, 0xbf1a4643, v1
	v_add_f32_e32 v10, v16, v10
	v_mul_f32_e32 v16, 0xbe3c28d5, v0
	v_add_f32_e32 v19, v37, v19
	v_fma_f32 v36, 0x3f6eb680, v1, -v33
	v_add_f32_e32 v34, v38, v34
	v_fmac_f32_e32 v33, 0x3f6eb680, v1
	v_fma_f32 v37, 0xbf7ba420, v1, -v16
	v_mul_f32_e32 v38, 0x3f2c7751, v0
	v_mul_f32_e32 v0, 0xbf763a35, v0
	v_sub_f32_e32 v2, v2, v4
	v_add_f32_e32 v33, v35, v33
	v_add_f32_e32 v35, v39, v37
	v_fma_f32 v37, 0x3f3d2fb0, v1, -v38
	v_add_f32_e32 v3, v3, v5
	v_mul_f32_e32 v5, 0xbe3c28d5, v2
	v_fmac_f32_e32 v16, 0xbf7ba420, v1
	v_fmac_f32_e32 v38, 0x3f3d2fb0, v1
	v_add_f32_e32 v4, v8, v37
	v_fma_f32 v8, 0xbe8c1d8e, v1, -v0
	v_fmac_f32_e32 v0, 0xbe8c1d8e, v1
	v_add_f32_e32 v16, v18, v16
	v_add_f32_e32 v52, v52, v57
	;; [unrolled: 1-line block ×4, first 2 shown]
	v_mul_f32_e32 v8, 0x3eb8f4ab, v2
	v_fma_f32 v11, 0xbf7ba420, v3, -v5
	v_fmac_f32_e32 v5, 0xbf7ba420, v3
	v_add_f32_e32 v0, v6, v0
	v_mul_f32_e32 v6, 0xbf06c442, v2
	v_fma_f32 v18, 0x3f6eb680, v3, -v8
	v_add_f32_e32 v11, v12, v11
	v_add_f32_e32 v5, v9, v5
	v_fmac_f32_e32 v8, 0x3f6eb680, v3
	v_fma_f32 v9, 0xbf59a7d5, v3, -v6
	v_add_f32_e32 v12, v32, v18
	v_mul_f32_e32 v18, 0x3f2c7751, v2
	v_fmac_f32_e32 v6, 0xbf59a7d5, v3
	v_add_f32_e32 v8, v17, v8
	v_add_f32_e32 v9, v13, v9
	v_mul_f32_e32 v13, 0xbf4c4adb, v2
	v_fma_f32 v17, 0x3f3d2fb0, v3, -v18
	v_add_f32_e32 v6, v10, v6
	v_mul_f32_e32 v10, 0x3f65296c, v2
	v_add_f32_e32 v43, v52, v43
	v_fma_f32 v32, 0xbf1a4643, v3, -v13
	v_fmac_f32_e32 v13, 0xbf1a4643, v3
	v_add_f32_e32 v17, v19, v17
	v_fma_f32 v19, 0x3ee437d1, v3, -v10
	v_fmac_f32_e32 v10, 0x3ee437d1, v3
	v_add_f32_e32 v40, v43, v40
	v_fmac_f32_e32 v18, 0x3f3d2fb0, v3
	v_add_f32_e32 v13, v33, v13
	v_mul_f32_e32 v33, 0xbf763a35, v2
	v_mul_f32_e32 v2, 0x3f7ee86f, v2
	v_add_f32_e32 v10, v16, v10
	v_lshlrev_b32_e32 v16, 6, v47
	v_add_f32_e32 v36, v40, v36
	v_add_f32_e32 v18, v34, v18
	v_fma_f32 v34, 0xbe8c1d8e, v3, -v33
	v_add_f32_e32 v19, v35, v19
	v_fma_f32 v35, 0x3dbcf732, v3, -v2
	v_fmac_f32_e32 v2, 0x3dbcf732, v3
	v_fmac_f32_e32 v33, 0xbe8c1d8e, v3
	v_add3_u32 v3, v14, v16, v49
	v_add_f32_e32 v32, v36, v32
	v_add_f32_e32 v4, v4, v34
	;; [unrolled: 1-line block ×5, first 2 shown]
	ds_write2_b32 v3, v15, v11 offset1:1
	ds_write2_b32 v3, v12, v9 offset0:2 offset1:3
	ds_write2_b32 v3, v17, v32 offset0:4 offset1:5
	;; [unrolled: 1-line block ×7, first 2 shown]
	ds_write_b32 v3, v5 offset:64
.LBB0_16:
	s_or_b32 exec_lo, exec_lo, s1
	s_waitcnt lgkmcnt(0)
	s_barrier
	buffer_gl0_inv
	s_and_saveexec_b32 s0, vcc_lo
	s_cbranch_execz .LBB0_18
; %bb.17:
	v_mul_u32_u24_e32 v0, 10, v47
	v_add_nc_u32_e32 v45, 17, v46
	v_add_nc_u32_e32 v47, 34, v46
	;; [unrolled: 1-line block ×3, first 2 shown]
	v_mad_u64_u32 v[38:39], null, s2, v46, 0
	v_lshlrev_b32_e32 v0, 3, v0
	v_mad_u64_u32 v[52:53], null, s2, v47, 0
	v_mad_u64_u32 v[54:55], null, s2, v49, 0
	s_clause 0x4
	global_load_dwordx4 v[12:15], v0, s[8:9]
	global_load_dwordx4 v[16:19], v0, s[8:9] offset:64
	global_load_dwordx4 v[4:7], v0, s[8:9] offset:16
	;; [unrolled: 1-line block ×4, first 2 shown]
	ds_read2_b32 v[32:33], v51 offset0:17 offset1:34
	ds_read2_b32 v[34:35], v51 offset0:153 offset1:170
	;; [unrolled: 1-line block ×5, first 2 shown]
	ds_read_b32 v44, v50
	v_mad_u64_u32 v[50:51], null, s2, v45, 0
	v_add_nc_u32_e32 v62, 0x44, v46
	v_lshlrev_b64 v[20:21], 3, v[20:21]
	v_add_nc_u32_e32 v63, 0x55, v46
	v_mad_u64_u32 v[56:57], null, s2, v62, 0
	s_waitcnt lgkmcnt(1)
	v_mad_u64_u32 v[58:59], null, s3, v46, v[39:40]
	v_mad_u64_u32 v[59:60], null, s3, v45, v[51:52]
	;; [unrolled: 1-line block ×3, first 2 shown]
	v_add_co_u32 v45, vcc_lo, s12, v20
	v_add_co_ci_u32_e32 v47, vcc_lo, s13, v21, vcc_lo
	v_mov_b32_e32 v20, v55
	v_mov_b32_e32 v21, v57
	;; [unrolled: 1-line block ×5, first 2 shown]
	v_mad_u64_u32 v[57:58], null, s3, v49, v[20:21]
	v_lshlrev_b64 v[49:50], 3, v[50:51]
	v_lshlrev_b64 v[51:52], 3, v[52:53]
	v_lshlrev_b64 v[38:39], 3, v[38:39]
	v_add_co_u32 v38, vcc_lo, v45, v38
	v_add_co_ci_u32_e32 v39, vcc_lo, v47, v39, vcc_lo
	v_add_co_u32 v49, vcc_lo, v45, v49
	v_add_co_ci_u32_e32 v50, vcc_lo, v47, v50, vcc_lo
	s_waitcnt vmcnt(4)
	v_mul_f32_e32 v20, v28, v12
	s_waitcnt vmcnt(3)
	v_mul_f32_e32 v53, v31, v18
	v_mul_f32_e32 v31, v31, v19
	;; [unrolled: 1-line block ×7, first 2 shown]
	s_waitcnt vmcnt(2)
	v_mul_f32_e32 v59, v24, v4
	s_waitcnt vmcnt(1)
	v_mul_f32_e32 v60, v27, v10
	v_mul_f32_e32 v27, v27, v11
	;; [unrolled: 1-line block ×7, first 2 shown]
	s_waitcnt vmcnt(0)
	v_mul_f32_e32 v65, v22, v0
	v_mul_f32_e32 v66, v23, v2
	;; [unrolled: 1-line block ×4, first 2 shown]
	v_fmac_f32_e32 v20, v32, v13
	v_fmac_f32_e32 v53, v35, v19
	v_fma_f32 v18, v35, v18, -v31
	v_fma_f32 v12, v32, v12, -v28
	v_fmac_f32_e32 v55, v33, v15
	v_fmac_f32_e32 v58, v34, v17
	v_fma_f32 v15, v34, v16, -v30
	v_fma_f32 v13, v33, v14, -v29
	;; [unrolled: 4-line block ×5, first 2 shown]
	v_sub_f32_e32 v2, v20, v53
	v_add_f32_e32 v3, v12, v18
	v_sub_f32_e32 v22, v12, v18
	v_add_f32_e32 v23, v20, v53
	s_waitcnt lgkmcnt(0)
	v_add_f32_e32 v12, v12, v44
	v_add_f32_e32 v20, v48, v20
	v_sub_f32_e32 v7, v55, v58
	v_add_f32_e32 v8, v13, v15
	v_sub_f32_e32 v9, v59, v60
	;; [unrolled: 2-line block ×5, first 2 shown]
	v_sub_f32_e32 v26, v4, v10
	v_sub_f32_e32 v28, v6, v5
	;; [unrolled: 1-line block ×3, first 2 shown]
	v_mul_f32_e32 v32, 0xbf7d64f0, v2
	v_mul_f32_e32 v36, 0xbf4178ce, v2
	;; [unrolled: 1-line block ×6, first 2 shown]
	v_add_f32_e32 v12, v12, v13
	v_add_f32_e32 v13, v20, v55
	;; [unrolled: 1-line block ×6, first 2 shown]
	v_mul_f32_e32 v33, 0x3e903f40, v7
	v_mul_f32_e32 v34, 0x3f68dda4, v9
	;; [unrolled: 1-line block ×44, first 2 shown]
	v_fmamk_f32 v100, v3, 0xbe11bafb, v32
	v_fmamk_f32 v104, v3, 0xbf27a4f4, v36
	v_fmamk_f32 v108, v3, 0xbf75a155, v42
	v_fma_f32 v42, 0xbf75a155, v3, -v42
	v_fma_f32 v36, 0xbf27a4f4, v3, -v36
	;; [unrolled: 1-line block ×3, first 2 shown]
	v_fmamk_f32 v32, v2, 0x3f68dda4, v69
	v_fmamk_f32 v112, v2, 0x3f0a6770, v73
	v_fmac_f32_e32 v69, 0xbf68dda4, v2
	v_fmac_f32_e32 v73, 0xbf0a6770, v2
	v_fma_f32 v117, 0xbe11bafb, v23, -v82
	v_add_f32_e32 v4, v12, v4
	v_add_f32_e32 v12, v13, v59
	v_fmamk_f32 v101, v8, 0xbf75a155, v33
	v_fmamk_f32 v102, v11, 0x3ed4b147, v34
	;; [unrolled: 1-line block ×9, first 2 shown]
	v_fma_f32 v43, 0x3f575c64, v8, -v43
	v_fma_f32 v67, 0xbf27a4f4, v11, -v67
	;; [unrolled: 1-line block ×9, first 2 shown]
	v_fmamk_f32 v33, v7, 0x3f4178ce, v70
	v_fmamk_f32 v34, v9, 0xbe903f40, v71
	;; [unrolled: 1-line block ×4, first 2 shown]
	v_fmac_f32_e32 v70, 0xbf4178ce, v7
	v_fmac_f32_e32 v74, 0xbf68dda4, v7
	v_fmamk_f32 v7, v9, 0x3f7d64f0, v75
	v_fmac_f32_e32 v71, 0x3e903f40, v9
	v_fmac_f32_e32 v75, 0xbf7d64f0, v9
	v_fmamk_f32 v9, v14, 0x3f4178ce, v76
	;; [unrolled: 3-line block ×3, first 2 shown]
	v_fma_f32 v77, 0xbe11bafb, v19, -v77
	v_fmamk_f32 v113, v19, 0x3ed4b147, v78
	v_fma_f32 v78, 0x3ed4b147, v19, -v78
	v_fmamk_f32 v114, v19, 0xbf27a4f4, v79
	;; [unrolled: 2-line block ×3, first 2 shown]
	v_fmac_f32_e32 v80, 0x3f0a6770, v17
	v_fmamk_f32 v115, v17, 0x3e903f40, v81
	v_fmac_f32_e32 v81, 0xbe903f40, v17
	v_fma_f32 v17, 0xbf75a155, v23, -v84
	v_fmac_f32_e32 v84, 0xbf75a155, v23
	v_fma_f32 v116, 0xbf27a4f4, v23, -v83
	v_fmac_f32_e32 v83, 0xbf27a4f4, v23
	v_fmac_f32_e32 v82, 0xbe11bafb, v23
	v_fmamk_f32 v118, v23, 0x3ed4b147, v85
	v_fma_f32 v85, 0x3ed4b147, v23, -v85
	v_fmamk_f32 v119, v23, 0x3f575c64, v22
	v_fma_f32 v22, 0x3f575c64, v23, -v22
	v_fma_f32 v23, 0x3f575c64, v25, -v20
	v_fmac_f32_e32 v20, 0x3f575c64, v25
	v_fma_f32 v120, 0xbe11bafb, v25, -v86
	v_fmac_f32_e32 v86, 0xbe11bafb, v25
	v_fma_f32 v121, 0xbf75a155, v25, -v55
	v_fmac_f32_e32 v55, 0xbf75a155, v25
	v_fmamk_f32 v122, v25, 0xbf27a4f4, v87
	v_fma_f32 v87, 0xbf27a4f4, v25, -v87
	v_fmamk_f32 v123, v25, 0x3ed4b147, v24
	v_fma_f32 v24, 0x3ed4b147, v25, -v24
	v_fma_f32 v13, 0xbf27a4f4, v27, -v88
	v_fmac_f32_e32 v88, 0xbf27a4f4, v27
	v_fma_f32 v25, 0x3f575c64, v27, -v90
	v_fmac_f32_e32 v90, 0x3f575c64, v27
	v_fma_f32 v59, 0x3ed4b147, v27, -v89
	;; [unrolled: 10-line block ×4, first 2 shown]
	v_fmac_f32_e32 v96, 0xbf27a4f4, v31
	v_fmamk_f32 v132, v31, 0x3f575c64, v99
	v_fma_f32 v99, 0x3f575c64, v31, -v99
	v_fmamk_f32 v133, v31, 0xbf75a155, v30
	v_fma_f32 v30, 0xbf75a155, v31, -v30
	v_add_f32_e32 v4, v4, v6
	v_add_f32_e32 v6, v12, v61
	;; [unrolled: 1-line block ×87, first 2 shown]
	global_store_dwordx2 v[38:39], v[16:17], off
	v_mad_u64_u32 v[16:17], null, s3, v62, v[21:22]
	v_add_f32_e32 v24, v24, v127
	v_add_f32_e32 v42, v6, v95
	;; [unrolled: 1-line block ×3, first 2 shown]
	v_mad_u64_u32 v[20:21], null, s2, v63, 0
	v_add_f32_e32 v25, v25, v126
	v_add_f32_e32 v32, v32, v128
	;; [unrolled: 1-line block ×5, first 2 shown]
	v_mov_b32_e32 v55, v57
	v_add_f32_e32 v0, v24, v131
	v_add_co_u32 v24, vcc_lo, v45, v51
	v_add_f32_e32 v23, v23, v41
	v_add_f32_e32 v41, v4, v72
	;; [unrolled: 1-line block ×6, first 2 shown]
	v_add_co_ci_u32_e32 v25, vcc_lo, v47, v52, vcc_lo
	v_mov_b32_e32 v57, v16
	global_store_dwordx2 v[49:50], v[14:15], off
	v_lshlrev_b64 v[15:16], 3, v[54:55]
	v_mov_b32_e32 v14, v21
	v_add_f32_e32 v8, v8, v89
	global_store_dwordx2 v[24:25], v[12:13], off
	v_lshlrev_b64 v[12:13], 3, v[56:57]
	v_add_f32_e32 v3, v26, v113
	v_mad_u64_u32 v[24:25], null, s3, v63, v[14:15]
	v_add_f32_e32 v34, v8, v92
	v_add_co_u32 v14, vcc_lo, v45, v15
	v_add_nc_u32_e32 v25, 0x66, v46
	v_add_co_ci_u32_e32 v15, vcc_lo, v47, v16, vcc_lo
	v_add_co_u32 v12, vcc_lo, v45, v12
	v_add_f32_e32 v9, v23, v78
	v_add_f32_e32 v8, v27, v97
	;; [unrolled: 1-line block ×3, first 2 shown]
	v_add_co_ci_u32_e32 v13, vcc_lo, v47, v13, vcc_lo
	v_mad_u64_u32 v[16:17], null, s2, v25, 0
	v_add_nc_u32_e32 v26, 0x88, v46
	global_store_dwordx2 v[14:15], v[10:11], off
	global_store_dwordx2 v[12:13], v[8:9], off
	v_mov_b32_e32 v21, v24
	v_add_nc_u32_e32 v15, 0x77, v46
	v_mad_u64_u32 v[13:14], null, s2, v26, 0
	v_mov_b32_e32 v12, v17
	v_lshlrev_b64 v[8:9], 3, v[20:21]
	v_add_nc_u32_e32 v27, 0x99, v46
	v_mad_u64_u32 v[10:11], null, s2, v15, 0
	v_add_nc_u32_e32 v28, 0xaa, v46
	v_mad_u64_u32 v[20:21], null, s3, v25, v[12:13]
	v_add_co_u32 v8, vcc_lo, v45, v8
	v_mad_u64_u32 v[24:25], null, s2, v27, 0
	v_add_co_ci_u32_e32 v9, vcc_lo, v47, v9, vcc_lo
	v_mov_b32_e32 v17, v20
	v_mad_u64_u32 v[20:21], null, s2, v28, 0
	v_mad_u64_u32 v[11:12], null, s3, v15, v[11:12]
	v_mov_b32_e32 v12, v14
	global_store_dwordx2 v[8:9], v[6:7], off
	v_lshlrev_b64 v[7:8], 3, v[16:17]
	v_mov_b32_e32 v6, v25
	v_add_f32_e32 v44, v44, v74
	v_mad_u64_u32 v[14:15], null, s3, v26, v[12:13]
	v_lshlrev_b64 v[9:10], 3, v[10:11]
	v_mad_u64_u32 v[15:16], null, s3, v27, v[6:7]
	v_mov_b32_e32 v6, v21
	v_add_co_u32 v7, vcc_lo, v45, v7
	v_add_co_ci_u32_e32 v8, vcc_lo, v47, v8, vcc_lo
	v_add_co_u32 v9, vcc_lo, v45, v9
	v_mad_u64_u32 v[11:12], null, s3, v28, v[6:7]
	v_mov_b32_e32 v25, v15
	v_lshlrev_b64 v[12:13], 3, v[13:14]
	v_add_f32_e32 v33, v44, v75
	v_add_co_ci_u32_e32 v10, vcc_lo, v47, v10, vcc_lo
	v_lshlrev_b64 v[14:15], 3, v[24:25]
	v_mov_b32_e32 v21, v11
	v_add_co_u32 v11, vcc_lo, v45, v12
	v_add_co_ci_u32_e32 v12, vcc_lo, v47, v13, vcc_lo
	v_lshlrev_b64 v[16:17], 3, v[20:21]
	v_add_f32_e32 v33, v33, v76
	v_add_co_u32 v13, vcc_lo, v45, v14
	v_add_co_ci_u32_e32 v14, vcc_lo, v47, v15, vcc_lo
	v_add_co_u32 v15, vcc_lo, v45, v16
	v_add_f32_e32 v19, v41, v80
	v_add_f32_e32 v18, v42, v99
	;; [unrolled: 1-line block ×3, first 2 shown]
	v_add_co_ci_u32_e32 v16, vcc_lo, v47, v17, vcc_lo
	global_store_dwordx2 v[7:8], v[4:5], off
	global_store_dwordx2 v[9:10], v[2:3], off
	;; [unrolled: 1-line block ×5, first 2 shown]
.LBB0_18:
	s_endpgm
	.section	.rodata,"a",@progbits
	.p2align	6, 0x0
	.amdhsa_kernel fft_rtc_back_len187_factors_17_11_wgs_119_tpt_17_halfLds_sp_ip_CI_sbrr_dirReg
		.amdhsa_group_segment_fixed_size 0
		.amdhsa_private_segment_fixed_size 0
		.amdhsa_kernarg_size 88
		.amdhsa_user_sgpr_count 6
		.amdhsa_user_sgpr_private_segment_buffer 1
		.amdhsa_user_sgpr_dispatch_ptr 0
		.amdhsa_user_sgpr_queue_ptr 0
		.amdhsa_user_sgpr_kernarg_segment_ptr 1
		.amdhsa_user_sgpr_dispatch_id 0
		.amdhsa_user_sgpr_flat_scratch_init 0
		.amdhsa_user_sgpr_private_segment_size 0
		.amdhsa_wavefront_size32 1
		.amdhsa_uses_dynamic_stack 0
		.amdhsa_system_sgpr_private_segment_wavefront_offset 0
		.amdhsa_system_sgpr_workgroup_id_x 1
		.amdhsa_system_sgpr_workgroup_id_y 0
		.amdhsa_system_sgpr_workgroup_id_z 0
		.amdhsa_system_sgpr_workgroup_info 0
		.amdhsa_system_vgpr_workitem_id 0
		.amdhsa_next_free_vgpr 134
		.amdhsa_next_free_sgpr 23
		.amdhsa_reserve_vcc 1
		.amdhsa_reserve_flat_scratch 0
		.amdhsa_float_round_mode_32 0
		.amdhsa_float_round_mode_16_64 0
		.amdhsa_float_denorm_mode_32 3
		.amdhsa_float_denorm_mode_16_64 3
		.amdhsa_dx10_clamp 1
		.amdhsa_ieee_mode 1
		.amdhsa_fp16_overflow 0
		.amdhsa_workgroup_processor_mode 1
		.amdhsa_memory_ordered 1
		.amdhsa_forward_progress 0
		.amdhsa_shared_vgpr_count 0
		.amdhsa_exception_fp_ieee_invalid_op 0
		.amdhsa_exception_fp_denorm_src 0
		.amdhsa_exception_fp_ieee_div_zero 0
		.amdhsa_exception_fp_ieee_overflow 0
		.amdhsa_exception_fp_ieee_underflow 0
		.amdhsa_exception_fp_ieee_inexact 0
		.amdhsa_exception_int_div_zero 0
	.end_amdhsa_kernel
	.text
.Lfunc_end0:
	.size	fft_rtc_back_len187_factors_17_11_wgs_119_tpt_17_halfLds_sp_ip_CI_sbrr_dirReg, .Lfunc_end0-fft_rtc_back_len187_factors_17_11_wgs_119_tpt_17_halfLds_sp_ip_CI_sbrr_dirReg
                                        ; -- End function
	.section	.AMDGPU.csdata,"",@progbits
; Kernel info:
; codeLenInByte = 10176
; NumSgprs: 25
; NumVgprs: 134
; ScratchSize: 0
; MemoryBound: 0
; FloatMode: 240
; IeeeMode: 1
; LDSByteSize: 0 bytes/workgroup (compile time only)
; SGPRBlocks: 3
; VGPRBlocks: 16
; NumSGPRsForWavesPerEU: 25
; NumVGPRsForWavesPerEU: 134
; Occupancy: 7
; WaveLimiterHint : 1
; COMPUTE_PGM_RSRC2:SCRATCH_EN: 0
; COMPUTE_PGM_RSRC2:USER_SGPR: 6
; COMPUTE_PGM_RSRC2:TRAP_HANDLER: 0
; COMPUTE_PGM_RSRC2:TGID_X_EN: 1
; COMPUTE_PGM_RSRC2:TGID_Y_EN: 0
; COMPUTE_PGM_RSRC2:TGID_Z_EN: 0
; COMPUTE_PGM_RSRC2:TIDIG_COMP_CNT: 0
	.text
	.p2alignl 6, 3214868480
	.fill 48, 4, 3214868480
	.type	__hip_cuid_9a6768ddcd50ca40,@object ; @__hip_cuid_9a6768ddcd50ca40
	.section	.bss,"aw",@nobits
	.globl	__hip_cuid_9a6768ddcd50ca40
__hip_cuid_9a6768ddcd50ca40:
	.byte	0                               ; 0x0
	.size	__hip_cuid_9a6768ddcd50ca40, 1

	.ident	"AMD clang version 19.0.0git (https://github.com/RadeonOpenCompute/llvm-project roc-6.4.0 25133 c7fe45cf4b819c5991fe208aaa96edf142730f1d)"
	.section	".note.GNU-stack","",@progbits
	.addrsig
	.addrsig_sym __hip_cuid_9a6768ddcd50ca40
	.amdgpu_metadata
---
amdhsa.kernels:
  - .args:
      - .actual_access:  read_only
        .address_space:  global
        .offset:         0
        .size:           8
        .value_kind:     global_buffer
      - .offset:         8
        .size:           8
        .value_kind:     by_value
      - .actual_access:  read_only
        .address_space:  global
        .offset:         16
        .size:           8
        .value_kind:     global_buffer
      - .actual_access:  read_only
        .address_space:  global
        .offset:         24
        .size:           8
        .value_kind:     global_buffer
      - .offset:         32
        .size:           8
        .value_kind:     by_value
      - .actual_access:  read_only
        .address_space:  global
        .offset:         40
        .size:           8
        .value_kind:     global_buffer
      - .actual_access:  read_only
        .address_space:  global
        .offset:         48
        .size:           8
        .value_kind:     global_buffer
      - .offset:         56
        .size:           4
        .value_kind:     by_value
      - .actual_access:  read_only
        .address_space:  global
        .offset:         64
        .size:           8
        .value_kind:     global_buffer
      - .actual_access:  read_only
        .address_space:  global
        .offset:         72
        .size:           8
        .value_kind:     global_buffer
      - .address_space:  global
        .offset:         80
        .size:           8
        .value_kind:     global_buffer
    .group_segment_fixed_size: 0
    .kernarg_segment_align: 8
    .kernarg_segment_size: 88
    .language:       OpenCL C
    .language_version:
      - 2
      - 0
    .max_flat_workgroup_size: 119
    .name:           fft_rtc_back_len187_factors_17_11_wgs_119_tpt_17_halfLds_sp_ip_CI_sbrr_dirReg
    .private_segment_fixed_size: 0
    .sgpr_count:     25
    .sgpr_spill_count: 0
    .symbol:         fft_rtc_back_len187_factors_17_11_wgs_119_tpt_17_halfLds_sp_ip_CI_sbrr_dirReg.kd
    .uniform_work_group_size: 1
    .uses_dynamic_stack: false
    .vgpr_count:     134
    .vgpr_spill_count: 0
    .wavefront_size: 32
    .workgroup_processor_mode: 1
amdhsa.target:   amdgcn-amd-amdhsa--gfx1030
amdhsa.version:
  - 1
  - 2
...

	.end_amdgpu_metadata
